;; amdgpu-corpus repo=ROCm/rocFFT kind=compiled arch=gfx1201 opt=O3
	.text
	.amdgcn_target "amdgcn-amd-amdhsa--gfx1201"
	.amdhsa_code_object_version 6
	.protected	bluestein_single_fwd_len20_dim1_sp_op_CI_CI ; -- Begin function bluestein_single_fwd_len20_dim1_sp_op_CI_CI
	.globl	bluestein_single_fwd_len20_dim1_sp_op_CI_CI
	.p2align	8
	.type	bluestein_single_fwd_len20_dim1_sp_op_CI_CI,@function
bluestein_single_fwd_len20_dim1_sp_op_CI_CI: ; @bluestein_single_fwd_len20_dim1_sp_op_CI_CI
; %bb.0:
	s_load_b128 s[4:7], s[0:1], 0x28
	v_mul_u32_u24_e32 v1, 0x199a, v0
	s_mov_b32 s2, exec_lo
	s_delay_alu instid0(VALU_DEP_1) | instskip(NEXT) | instid1(VALU_DEP_1)
	v_lshrrev_b32_e32 v1, 16, v1
	v_mad_co_u64_u32 v[20:21], null, ttmp9, 25, v[1:2]
	v_mov_b32_e32 v21, 0
	s_wait_kmcnt 0x0
	s_delay_alu instid0(VALU_DEP_1)
	v_cmpx_gt_u64_e64 s[4:5], v[20:21]
	s_cbranch_execz .LBB0_23
; %bb.1:
	v_mul_hi_u32 v2, 0x51eb851f, v20
	v_mul_lo_u16 v1, v1, 10
	s_clause 0x1
	s_load_b64 s[12:13], s[0:1], 0x0
	s_load_b64 s[4:5], s[0:1], 0x38
	s_delay_alu instid0(VALU_DEP_1) | instskip(NEXT) | instid1(VALU_DEP_3)
	v_sub_nc_u16 v0, v0, v1
	v_lshrrev_b32_e32 v2, 3, v2
	s_delay_alu instid0(VALU_DEP_2) | instskip(SKIP_1) | instid1(VALU_DEP_3)
	v_and_b32_e32 v23, 0xffff, v0
	v_cmp_gt_u16_e32 vcc_lo, 4, v0
	v_mul_lo_u32 v2, v2, 25
	s_delay_alu instid0(VALU_DEP_3)
	v_lshlrev_b32_e32 v29, 3, v23
	v_or_b32_e32 v24, 4, v23
	v_or_b32_e32 v25, 8, v23
	;; [unrolled: 1-line block ×4, first 2 shown]
	v_sub_nc_u32_e32 v1, v20, v2
	s_delay_alu instid0(VALU_DEP_1) | instskip(NEXT) | instid1(VALU_DEP_1)
	v_mul_u32_u24_e32 v28, 20, v1
	v_or_b32_e32 v0, v28, v23
	s_delay_alu instid0(VALU_DEP_1)
	v_lshlrev_b32_e32 v30, 3, v0
	s_and_saveexec_b32 s3, vcc_lo
	s_cbranch_execz .LBB0_3
; %bb.2:
	s_load_b64 s[8:9], s[0:1], 0x18
	v_lshl_add_u32 v35, v28, 3, v29
	s_wait_kmcnt 0x0
	s_load_b128 s[8:11], s[8:9], 0x0
	s_wait_kmcnt 0x0
	v_mad_co_u64_u32 v[0:1], null, s10, v20, 0
	v_mad_co_u64_u32 v[2:3], null, s8, v23, 0
	;; [unrolled: 1-line block ×12, first 2 shown]
	s_clause 0x1
	global_load_b64 v[18:19], v29, s[12:13]
	global_load_b64 v[21:22], v29, s[12:13] offset:32
	v_mov_b32_e32 v1, v12
	v_mov_b32_e32 v3, v13
	;; [unrolled: 1-line block ×4, first 2 shown]
	s_delay_alu instid0(VALU_DEP_4) | instskip(NEXT) | instid1(VALU_DEP_4)
	v_lshlrev_b64_e32 v[0:1], 3, v[0:1]
	v_lshlrev_b64_e32 v[2:3], 3, v[2:3]
	s_delay_alu instid0(VALU_DEP_4) | instskip(SKIP_3) | instid1(VALU_DEP_1)
	v_lshlrev_b64_e32 v[4:5], 3, v[4:5]
	v_mov_b32_e32 v11, v17
	v_lshlrev_b64_e32 v[8:9], 3, v[8:9]
	v_add_co_u32 v12, s2, s6, v0
	v_add_co_ci_u32_e64 v13, s2, s7, v1, s2
	s_delay_alu instid0(VALU_DEP_4) | instskip(NEXT) | instid1(VALU_DEP_3)
	v_lshlrev_b64_e32 v[0:1], 3, v[10:11]
	v_add_co_u32 v2, s2, v12, v2
	s_wait_alu 0xf1ff
	s_delay_alu instid0(VALU_DEP_3)
	v_add_co_ci_u32_e64 v3, s2, v13, v3, s2
	v_add_co_u32 v4, s2, v12, v4
	s_wait_alu 0xf1ff
	v_add_co_ci_u32_e64 v5, s2, v13, v5, s2
	global_load_b64 v[2:3], v[2:3], off
	s_wait_loadcnt 0x0
	v_mul_f32_e32 v16, v3, v19
	v_mov_b32_e32 v7, v15
	v_mul_f32_e32 v17, v2, v19
	s_delay_alu instid0(VALU_DEP_3) | instskip(NEXT) | instid1(VALU_DEP_3)
	v_fmac_f32_e32 v16, v2, v18
	v_lshlrev_b64_e32 v[6:7], 3, v[6:7]
	s_delay_alu instid0(VALU_DEP_3) | instskip(NEXT) | instid1(VALU_DEP_2)
	v_fma_f32 v17, v3, v18, -v17
	v_add_co_u32 v6, s2, v12, v6
	s_wait_alu 0xf1ff
	s_delay_alu instid0(VALU_DEP_3)
	v_add_co_ci_u32_e64 v7, s2, v13, v7, s2
	v_add_co_u32 v8, s2, v12, v8
	s_wait_alu 0xf1ff
	v_add_co_ci_u32_e64 v9, s2, v13, v9, s2
	v_add_co_u32 v0, s2, v12, v0
	s_wait_alu 0xf1ff
	v_add_co_ci_u32_e64 v1, s2, v13, v1, s2
	s_clause 0x1
	global_load_b64 v[4:5], v[4:5], off
	global_load_b64 v[6:7], v[6:7], off
	s_clause 0x1
	global_load_b64 v[10:11], v29, s[12:13] offset:64
	global_load_b64 v[12:13], v29, s[12:13] offset:96
	global_load_b64 v[8:9], v[8:9], off
	global_load_b64 v[14:15], v29, s[12:13] offset:128
	global_load_b64 v[0:1], v[0:1], off
	s_wait_loadcnt 0x6
	v_mul_f32_e32 v31, v5, v22
	v_mul_f32_e32 v19, v4, v22
	s_wait_loadcnt 0x4
	v_mul_f32_e32 v33, v7, v11
	s_wait_loadcnt 0x2
	v_dual_mul_f32 v22, v6, v11 :: v_dual_mul_f32 v11, v9, v13
	s_wait_loadcnt 0x0
	v_dual_mul_f32 v36, v8, v13 :: v_dual_mul_f32 v13, v1, v15
	v_mul_f32_e32 v15, v0, v15
	v_fmac_f32_e32 v31, v4, v21
	v_fma_f32 v32, v5, v21, -v19
	v_fmac_f32_e32 v33, v6, v10
	v_fma_f32 v34, v7, v10, -v22
	;; [unrolled: 2-line block ×4, first 2 shown]
	ds_store_b64 v30, v[16:17]
	ds_store_2addr_b64 v35, v[31:32], v[33:34] offset0:4 offset1:8
	ds_store_2addr_b64 v35, v[11:12], v[13:14] offset0:12 offset1:16
.LBB0_3:
	s_or_b32 exec_lo, exec_lo, s3
	v_lshlrev_b32_e32 v19, 3, v28
	global_wb scope:SCOPE_SE
	s_wait_dscnt 0x0
	s_wait_kmcnt 0x0
	s_barrier_signal -1
	s_barrier_wait -1
	global_inv scope:SCOPE_SE
                                        ; implicit-def: $vgpr4
                                        ; implicit-def: $vgpr17
                                        ; implicit-def: $vgpr10
	s_and_saveexec_b32 s2, vcc_lo
	s_cbranch_execz .LBB0_5
; %bb.4:
	v_lshl_add_u32 v0, v23, 3, v19
	ds_load_b64 v[10:11], v30
	ds_load_2addr_b64 v[15:18], v0 offset0:4 offset1:8
	ds_load_2addr_b64 v[4:7], v0 offset0:12 offset1:16
.LBB0_5:
	s_wait_alu 0xfffe
	s_or_b32 exec_lo, exec_lo, s2
	s_wait_dscnt 0x0
	v_dual_add_f32 v0, v4, v17 :: v_dual_add_f32 v1, v15, v10
	v_dual_sub_f32 v9, v16, v7 :: v_dual_sub_f32 v8, v6, v4
	s_load_b64 s[6:7], s[0:1], 0x8
	s_delay_alu instid0(VALU_DEP_2) | instskip(NEXT) | instid1(VALU_DEP_3)
	v_fma_f32 v2, -0.5, v0, v10
	v_dual_add_f32 v1, v17, v1 :: v_dual_add_f32 v12, v6, v15
	v_sub_f32_e32 v0, v15, v17
	s_delay_alu instid0(VALU_DEP_3) | instskip(SKIP_1) | instid1(VALU_DEP_4)
	v_dual_sub_f32 v3, v18, v5 :: v_dual_fmamk_f32 v14, v9, 0x3f737871, v2
	v_fmac_f32_e32 v2, 0xbf737871, v9
	v_dual_add_f32 v1, v4, v1 :: v_dual_fmac_f32 v10, -0.5, v12
	s_delay_alu instid0(VALU_DEP_3) | instskip(NEXT) | instid1(VALU_DEP_2)
	v_dual_sub_f32 v13, v4, v6 :: v_dual_fmac_f32 v14, 0x3f167918, v3
	v_dual_add_f32 v21, v16, v11 :: v_dual_add_f32 v12, v6, v1
	v_dual_sub_f32 v1, v17, v15 :: v_dual_add_f32 v0, v8, v0
	v_fmac_f32_e32 v2, 0xbf167918, v3
	v_fmamk_f32 v8, v3, 0xbf737871, v10
	s_delay_alu instid0(VALU_DEP_3) | instskip(SKIP_1) | instid1(VALU_DEP_4)
	v_dual_fmac_f32 v10, 0x3f737871, v3 :: v_dual_add_f32 v1, v13, v1
	v_sub_f32_e32 v4, v17, v4
	v_dual_fmac_f32 v2, 0x3e9e377a, v0 :: v_dual_sub_f32 v13, v7, v5
	s_delay_alu instid0(VALU_DEP_4) | instskip(NEXT) | instid1(VALU_DEP_4)
	v_fmac_f32_e32 v8, 0x3f167918, v9
	v_dual_fmac_f32 v10, 0xbf167918, v9 :: v_dual_add_f32 v9, v7, v16
	v_fmac_f32_e32 v14, 0x3e9e377a, v0
	v_add_f32_e32 v0, v5, v18
	s_delay_alu instid0(VALU_DEP_4)
	v_fmac_f32_e32 v8, 0x3e9e377a, v1
	v_mul_lo_u16 v32, v23, 5
	global_wb scope:SCOPE_SE
	s_wait_kmcnt 0x0
	s_barrier_signal -1
	v_fma_f32 v3, -0.5, v0, v11
	v_dual_fmac_f32 v11, -0.5, v9 :: v_dual_sub_f32 v0, v15, v6
	v_add_f32_e32 v6, v18, v21
	s_barrier_wait -1
	global_inv scope:SCOPE_SE
	v_fmamk_f32 v9, v4, 0x3f737871, v11
	v_fmac_f32_e32 v11, 0xbf737871, v4
	v_fmamk_f32 v15, v0, 0xbf737871, v3
	v_fmac_f32_e32 v3, 0x3f737871, v0
	s_delay_alu instid0(VALU_DEP_4) | instskip(SKIP_3) | instid1(VALU_DEP_2)
	v_fmac_f32_e32 v9, 0xbf167918, v0
	v_dual_fmac_f32 v10, 0x3e9e377a, v1 :: v_dual_add_f32 v1, v5, v6
	v_sub_f32_e32 v6, v16, v18
	v_dual_sub_f32 v16, v18, v16 :: v_dual_sub_f32 v5, v5, v7
	v_dual_fmac_f32 v11, 0x3f167918, v0 :: v_dual_add_f32 v6, v13, v6
	s_delay_alu instid0(VALU_DEP_4) | instskip(SKIP_2) | instid1(VALU_DEP_2)
	v_add_f32_e32 v13, v7, v1
	v_fmac_f32_e32 v15, 0xbf167918, v4
	v_fmac_f32_e32 v3, 0x3f167918, v4
	v_dual_add_f32 v4, v5, v16 :: v_dual_fmac_f32 v15, 0x3e9e377a, v6
	s_delay_alu instid0(VALU_DEP_2) | instskip(NEXT) | instid1(VALU_DEP_2)
	v_fmac_f32_e32 v3, 0x3e9e377a, v6
	v_fmac_f32_e32 v9, 0x3e9e377a, v4
	;; [unrolled: 1-line block ×3, first 2 shown]
	s_and_saveexec_b32 s2, vcc_lo
	s_cbranch_execz .LBB0_7
; %bb.6:
	v_and_b32_e32 v0, 0xffff, v32
	s_delay_alu instid0(VALU_DEP_1)
	v_add_lshl_u32 v0, v28, v0, 3
	ds_store_2addr_b64 v0, v[12:13], v[14:15] offset1:1
	ds_store_2addr_b64 v0, v[8:9], v[10:11] offset0:2 offset1:3
	ds_store_b64 v0, v[2:3] offset:32
.LBB0_7:
	s_wait_alu 0xfffe
	s_or_b32 exec_lo, exec_lo, s2
	v_cmp_gt_u16_e64 s2, 5, v23
	v_add_lshl_u32 v31, v28, v23, 3
	global_wb scope:SCOPE_SE
	s_wait_dscnt 0x0
	s_barrier_signal -1
	s_barrier_wait -1
	global_inv scope:SCOPE_SE
	s_and_saveexec_b32 s3, s2
	s_cbranch_execz .LBB0_9
; %bb.8:
	ds_load_2addr_b64 v[12:15], v31 offset1:5
	ds_load_2addr_b64 v[8:11], v31 offset0:10 offset1:15
.LBB0_9:
	s_wait_alu 0xfffe
	s_or_b32 exec_lo, exec_lo, s3
	v_add_nc_u32_e32 v0, -5, v23
	s_delay_alu instid0(VALU_DEP_1) | instskip(NEXT) | instid1(VALU_DEP_1)
	v_cndmask_b32_e64 v0, v0, v23, s2
	v_mul_i32_i24_e32 v1, 24, v0
	v_mul_hi_i32_i24_e32 v4, 24, v0
	s_delay_alu instid0(VALU_DEP_2) | instskip(SKIP_1) | instid1(VALU_DEP_2)
	v_add_co_u32 v0, s3, s6, v1
	s_wait_alu 0xf1ff
	v_add_co_ci_u32_e64 v1, s3, s7, v4, s3
	s_clause 0x1
	global_load_b128 v[4:7], v[0:1], off
	global_load_b64 v[21:22], v[0:1], off offset:16
	s_wait_loadcnt_dscnt 0x101
	v_mul_f32_e32 v1, v14, v5
	s_wait_dscnt 0x0
	v_dual_mul_f32 v0, v15, v5 :: v_dual_mul_f32 v17, v8, v7
	s_wait_loadcnt 0x0
	v_dual_mul_f32 v16, v9, v7 :: v_dual_mul_f32 v33, v10, v22
	s_delay_alu instid0(VALU_DEP_2) | instskip(SKIP_1) | instid1(VALU_DEP_3)
	v_fma_f32 v0, v14, v4, -v0
	v_mul_f32_e32 v18, v11, v22
	v_fma_f32 v8, v8, v6, -v16
	v_fmac_f32_e32 v17, v9, v6
	s_delay_alu instid0(VALU_DEP_3) | instskip(NEXT) | instid1(VALU_DEP_3)
	v_fma_f32 v9, v10, v21, -v18
	v_sub_f32_e32 v8, v12, v8
	s_delay_alu instid0(VALU_DEP_3) | instskip(SKIP_1) | instid1(VALU_DEP_4)
	v_dual_fmac_f32 v1, v15, v4 :: v_dual_sub_f32 v16, v13, v17
	v_fmac_f32_e32 v33, v11, v21
	v_sub_f32_e32 v9, v0, v9
	s_delay_alu instid0(VALU_DEP_4) | instskip(NEXT) | instid1(VALU_DEP_4)
	v_fma_f32 v11, v12, 2.0, -v8
	v_fma_f32 v13, v13, 2.0, -v16
	s_delay_alu instid0(VALU_DEP_4) | instskip(NEXT) | instid1(VALU_DEP_4)
	v_sub_f32_e32 v10, v1, v33
	v_fma_f32 v12, v0, 2.0, -v9
	s_delay_alu instid0(VALU_DEP_2) | instskip(SKIP_1) | instid1(VALU_DEP_3)
	v_sub_f32_e32 v0, v8, v10
	v_fma_f32 v1, v1, 2.0, -v10
	v_sub_f32_e32 v14, v11, v12
	s_delay_alu instid0(VALU_DEP_3) | instskip(NEXT) | instid1(VALU_DEP_3)
	v_fma_f32 v12, v8, 2.0, -v0
	v_sub_f32_e32 v15, v13, v1
	v_add_f32_e32 v1, v16, v9
	s_delay_alu instid0(VALU_DEP_4) | instskip(NEXT) | instid1(VALU_DEP_3)
	v_fma_f32 v10, v11, 2.0, -v14
	v_fma_f32 v11, v13, 2.0, -v15
	s_delay_alu instid0(VALU_DEP_3)
	v_fma_f32 v13, v16, 2.0, -v1
	s_and_saveexec_b32 s3, s2
	s_cbranch_execz .LBB0_11
; %bb.10:
	v_lshl_add_u32 v8, v28, 3, v29
	ds_store_2addr_b64 v8, v[10:11], v[12:13] offset1:5
	ds_store_2addr_b64 v8, v[14:15], v[0:1] offset0:10 offset1:15
.LBB0_11:
	s_wait_alu 0xfffe
	s_or_b32 exec_lo, exec_lo, s3
	global_wb scope:SCOPE_SE
	s_wait_dscnt 0x0
	s_barrier_signal -1
	s_barrier_wait -1
	global_inv scope:SCOPE_SE
	s_and_saveexec_b32 s3, vcc_lo
	s_cbranch_execz .LBB0_13
; %bb.12:
	global_load_b64 v[8:9], v29, s[12:13] offset:160
	s_add_nc_u64 s[6:7], s[12:13], 0xa0
	s_clause 0x3
	global_load_b64 v[16:17], v29, s[6:7] offset:32
	global_load_b64 v[41:42], v29, s[6:7] offset:64
	;; [unrolled: 1-line block ×4, first 2 shown]
	ds_load_b64 v[33:34], v30
	s_wait_loadcnt_dscnt 0x400
	v_mul_f32_e32 v18, v34, v9
	v_mul_f32_e32 v36, v33, v9
	s_delay_alu instid0(VALU_DEP_2) | instskip(NEXT) | instid1(VALU_DEP_2)
	v_fma_f32 v35, v33, v8, -v18
	v_fmac_f32_e32 v36, v34, v8
	v_lshl_add_u32 v18, v28, 3, v29
	ds_store_b64 v30, v[35:36]
	ds_load_2addr_b64 v[33:36], v18 offset0:4 offset1:8
	ds_load_2addr_b64 v[37:40], v18 offset0:12 offset1:16
	s_wait_loadcnt_dscnt 0x301
	v_mul_f32_e32 v9, v33, v17
	s_wait_loadcnt_dscnt 0x0
	v_dual_mul_f32 v8, v34, v17 :: v_dual_mul_f32 v49, v40, v46
	v_mul_f32_e32 v47, v36, v42
	v_dual_mul_f32 v17, v35, v42 :: v_dual_mul_f32 v48, v38, v44
	v_mul_f32_e32 v42, v37, v44
	v_dual_mul_f32 v44, v39, v46 :: v_dual_fmac_f32 v9, v34, v16
	v_fma_f32 v8, v33, v16, -v8
	v_fma_f32 v16, v35, v41, -v47
	v_fmac_f32_e32 v17, v36, v41
	v_fma_f32 v41, v37, v43, -v48
	v_fmac_f32_e32 v42, v38, v43
	;; [unrolled: 2-line block ×3, first 2 shown]
	ds_store_2addr_b64 v18, v[8:9], v[16:17] offset0:4 offset1:8
	ds_store_2addr_b64 v18, v[41:42], v[43:44] offset0:12 offset1:16
.LBB0_13:
	s_wait_alu 0xfffe
	s_or_b32 exec_lo, exec_lo, s3
	global_wb scope:SCOPE_SE
	s_wait_dscnt 0x0
	s_barrier_signal -1
	s_barrier_wait -1
	global_inv scope:SCOPE_SE
	s_and_saveexec_b32 s3, vcc_lo
	s_cbranch_execz .LBB0_15
; %bb.14:
	v_lshl_add_u32 v0, v23, 3, v19
	ds_load_b64 v[10:11], v30
	ds_load_2addr_b64 v[12:15], v0 offset0:4 offset1:8
	ds_load_2addr_b64 v[0:3], v0 offset0:12 offset1:16
.LBB0_15:
	s_wait_alu 0xfffe
	s_or_b32 exec_lo, exec_lo, s3
	s_wait_dscnt 0x0
	v_dual_add_f32 v8, v0, v14 :: v_dual_sub_f32 v35, v15, v1
	v_dual_add_f32 v9, v12, v10 :: v_dual_add_f32 v16, v2, v12
	v_dual_sub_f32 v34, v13, v3 :: v_dual_sub_f32 v17, v12, v14
	s_delay_alu instid0(VALU_DEP_3) | instskip(NEXT) | instid1(VALU_DEP_3)
	v_fma_f32 v33, -0.5, v8, v10
	v_dual_add_f32 v9, v14, v9 :: v_dual_fmac_f32 v10, -0.5, v16
	v_dual_sub_f32 v16, v2, v0 :: v_dual_sub_f32 v37, v0, v2
	s_delay_alu instid0(VALU_DEP_2) | instskip(NEXT) | instid1(VALU_DEP_3)
	v_dual_fmamk_f32 v18, v34, 0xbf737871, v33 :: v_dual_add_f32 v9, v0, v9
	v_dual_sub_f32 v19, v14, v12 :: v_dual_fmamk_f32 v8, v35, 0x3f737871, v10
	s_delay_alu instid0(VALU_DEP_3)
	v_add_f32_e32 v36, v16, v17
	global_wb scope:SCOPE_SE
	v_dual_add_f32 v16, v2, v9 :: v_dual_add_f32 v17, v37, v19
	v_dual_add_f32 v19, v1, v15 :: v_dual_fmac_f32 v8, 0xbf167918, v34
	v_add_f32_e32 v9, v13, v11
	v_fmac_f32_e32 v18, 0xbf167918, v35
	v_sub_f32_e32 v2, v12, v2
	s_delay_alu instid0(VALU_DEP_4) | instskip(SKIP_3) | instid1(VALU_DEP_4)
	v_fma_f32 v37, -0.5, v19, v11
	v_add_f32_e32 v38, v3, v13
	v_dual_add_f32 v9, v15, v9 :: v_dual_sub_f32 v0, v14, v0
	v_dual_sub_f32 v14, v13, v15 :: v_dual_sub_f32 v13, v15, v13
	v_fmamk_f32 v19, v2, 0x3f737871, v37
	s_delay_alu instid0(VALU_DEP_4) | instskip(SKIP_3) | instid1(VALU_DEP_4)
	v_dual_fmac_f32 v18, 0x3e9e377a, v36 :: v_dual_fmac_f32 v11, -0.5, v38
	v_fmac_f32_e32 v10, 0xbf737871, v35
	v_add_f32_e32 v12, v1, v9
	v_dual_fmac_f32 v8, 0x3e9e377a, v17 :: v_dual_sub_f32 v15, v1, v3
	v_fmamk_f32 v9, v0, 0xbf737871, v11
	s_barrier_signal -1
	s_barrier_wait -1
	global_inv scope:SCOPE_SE
	v_add_f32_e32 v13, v15, v13
	v_fmac_f32_e32 v9, 0x3f167918, v2
	v_dual_fmac_f32 v11, 0x3f737871, v0 :: v_dual_sub_f32 v38, v3, v1
	v_dual_fmac_f32 v10, 0x3f167918, v34 :: v_dual_fmac_f32 v19, 0x3f167918, v0
	s_delay_alu instid0(VALU_DEP_3) | instskip(NEXT) | instid1(VALU_DEP_3)
	v_fmac_f32_e32 v9, 0x3e9e377a, v13
	v_fmac_f32_e32 v11, 0xbf167918, v2
	s_delay_alu instid0(VALU_DEP_3) | instskip(SKIP_1) | instid1(VALU_DEP_3)
	v_dual_add_f32 v1, v38, v14 :: v_dual_fmac_f32 v10, 0x3e9e377a, v17
	v_add_f32_e32 v17, v3, v12
	v_fmac_f32_e32 v11, 0x3e9e377a, v13
	s_delay_alu instid0(VALU_DEP_3)
	v_fmac_f32_e32 v19, 0x3e9e377a, v1
	s_and_saveexec_b32 s3, vcc_lo
	s_cbranch_execz .LBB0_17
; %bb.16:
	v_mul_f32_e32 v0, 0x3f167918, v0
	v_mul_f32_e32 v3, 0x3f737871, v34
	;; [unrolled: 1-line block ×3, first 2 shown]
	v_and_b32_e32 v14, 0xffff, v32
	v_mul_f32_e32 v13, 0x3e9e377a, v36
	s_delay_alu instid0(VALU_DEP_4) | instskip(NEXT) | instid1(VALU_DEP_4)
	v_add_f32_e32 v3, v33, v3
	v_dual_sub_f32 v2, v37, v2 :: v_dual_mul_f32 v1, 0x3e9e377a, v1
	s_delay_alu instid0(VALU_DEP_1) | instskip(NEXT) | instid1(VALU_DEP_1)
	v_sub_f32_e32 v0, v2, v0
	v_dual_mul_f32 v12, 0x3f167918, v35 :: v_dual_add_f32 v1, v1, v0
	s_delay_alu instid0(VALU_DEP_1) | instskip(SKIP_1) | instid1(VALU_DEP_2)
	v_add_f32_e32 v2, v12, v3
	v_add_lshl_u32 v3, v28, v14, 3
	v_add_f32_e32 v0, v13, v2
	ds_store_2addr_b64 v3, v[16:17], v[18:19] offset1:1
	ds_store_2addr_b64 v3, v[8:9], v[10:11] offset0:2 offset1:3
	ds_store_b64 v3, v[0:1] offset:32
.LBB0_17:
	s_wait_alu 0xfffe
	s_or_b32 exec_lo, exec_lo, s3
	global_wb scope:SCOPE_SE
	s_wait_dscnt 0x0
	s_barrier_signal -1
	s_barrier_wait -1
	global_inv scope:SCOPE_SE
	s_and_saveexec_b32 s3, s2
	s_cbranch_execz .LBB0_19
; %bb.18:
	ds_load_2addr_b64 v[16:19], v31 offset1:5
	ds_load_2addr_b64 v[8:11], v31 offset0:10 offset1:15
.LBB0_19:
	s_wait_alu 0xfffe
	s_or_b32 exec_lo, exec_lo, s3
	s_and_saveexec_b32 s3, s2
	s_cbranch_execz .LBB0_21
; %bb.20:
	s_wait_dscnt 0x0
	v_dual_mul_f32 v2, v7, v9 :: v_dual_mul_f32 v3, v5, v18
	v_dual_mul_f32 v0, v7, v8 :: v_dual_mul_f32 v1, v5, v19
	s_delay_alu instid0(VALU_DEP_2) | instskip(NEXT) | instid1(VALU_DEP_3)
	v_fmac_f32_e32 v2, v6, v8
	v_fma_f32 v3, v4, v19, -v3
	v_mul_f32_e32 v5, v22, v10
	s_delay_alu instid0(VALU_DEP_4)
	v_fma_f32 v0, v6, v9, -v0
	v_mul_f32_e32 v7, v22, v11
	v_fmac_f32_e32 v1, v4, v18
	v_lshl_add_u32 v9, v28, 3, v29
	v_fma_f32 v4, v21, v11, -v5
	v_sub_f32_e32 v5, v17, v0
	s_delay_alu instid0(VALU_DEP_2) | instskip(SKIP_2) | instid1(VALU_DEP_3)
	v_sub_f32_e32 v0, v3, v4
	v_sub_f32_e32 v4, v16, v2
	v_fmac_f32_e32 v7, v21, v10
	v_fma_f32 v3, v3, 2.0, -v0
	s_delay_alu instid0(VALU_DEP_3) | instskip(NEXT) | instid1(VALU_DEP_3)
	v_add_f32_e32 v0, v4, v0
	v_sub_f32_e32 v2, v1, v7
	v_fma_f32 v8, v16, 2.0, -v4
	s_delay_alu instid0(VALU_DEP_3) | instskip(NEXT) | instid1(VALU_DEP_3)
	v_fma_f32 v4, v4, 2.0, -v0
	v_fma_f32 v7, v1, 2.0, -v2
	s_delay_alu instid0(VALU_DEP_1) | instskip(SKIP_1) | instid1(VALU_DEP_2)
	v_dual_sub_f32 v1, v5, v2 :: v_dual_sub_f32 v2, v8, v7
	v_fma_f32 v6, v17, 2.0, -v5
	v_fma_f32 v5, v5, 2.0, -v1
	s_delay_alu instid0(VALU_DEP_2) | instskip(NEXT) | instid1(VALU_DEP_1)
	v_sub_f32_e32 v3, v6, v3
	v_fma_f32 v7, v6, 2.0, -v3
	v_fma_f32 v6, v8, 2.0, -v2
	ds_store_2addr_b64 v9, v[6:7], v[4:5] offset1:5
	ds_store_2addr_b64 v9, v[2:3], v[0:1] offset0:10 offset1:15
.LBB0_21:
	s_wait_alu 0xfffe
	s_or_b32 exec_lo, exec_lo, s3
	global_wb scope:SCOPE_SE
	s_wait_dscnt 0x0
	s_barrier_signal -1
	s_barrier_wait -1
	global_inv scope:SCOPE_SE
	s_and_b32 exec_lo, exec_lo, vcc_lo
	s_cbranch_execz .LBB0_23
; %bb.22:
	s_clause 0x4
	global_load_b64 v[8:9], v29, s[12:13]
	global_load_b64 v[10:11], v29, s[12:13] offset:32
	global_load_b64 v[12:13], v29, s[12:13] offset:64
	;; [unrolled: 1-line block ×4, first 2 shown]
	v_lshl_add_u32 v4, v28, 3, v29
	s_load_b64 s[0:1], s[0:1], 0x20
	s_mov_b32 s6, 0x9999999a
	ds_load_b64 v[18:19], v30
	ds_load_2addr_b64 v[0:3], v4 offset0:4 offset1:8
	ds_load_2addr_b64 v[4:7], v4 offset0:12 offset1:16
	s_mov_b32 s7, 0x3fa99999
	s_wait_kmcnt 0x0
	s_load_b128 s[0:3], s[0:1], 0x0
	s_wait_kmcnt 0x0
	v_mad_co_u64_u32 v[32:33], null, s0, v25, 0
	v_mad_co_u64_u32 v[34:35], null, s0, v26, 0
	;; [unrolled: 1-line block ×3, first 2 shown]
	s_wait_loadcnt_dscnt 0x301
	v_dual_mul_f32 v21, v19, v9 :: v_dual_mul_f32 v22, v1, v11
	v_mul_f32_e32 v9, v18, v9
	s_wait_loadcnt 0x2
	v_dual_mul_f32 v11, v0, v11 :: v_dual_mul_f32 v28, v3, v13
	v_mul_f32_e32 v13, v2, v13
	s_wait_loadcnt_dscnt 0x0
	v_dual_mul_f32 v29, v5, v15 :: v_dual_mul_f32 v30, v7, v17
	s_delay_alu instid0(VALU_DEP_3)
	v_dual_mul_f32 v15, v4, v15 :: v_dual_fmac_f32 v28, v2, v12
	v_mul_f32_e32 v17, v6, v17
	v_dual_fmac_f32 v21, v18, v8 :: v_dual_fmac_f32 v22, v0, v10
	v_fma_f32 v8, v8, v19, -v9
	v_fma_f32 v9, v10, v1, -v11
	;; [unrolled: 1-line block ×3, first 2 shown]
	v_dual_fmac_f32 v29, v4, v14 :: v_dual_fmac_f32 v30, v6, v16
	v_fma_f32 v14, v14, v5, -v15
	v_fma_f32 v18, v16, v7, -v17
	v_cvt_f64_f32_e32 v[0:1], v21
	v_cvt_f64_f32_e32 v[2:3], v8
	;; [unrolled: 1-line block ×10, first 2 shown]
	v_mad_co_u64_u32 v[21:22], null, s2, v20, 0
	v_mad_co_u64_u32 v[28:29], null, s0, v23, 0
	v_mad_co_u64_u32 v[30:31], null, s0, v24, 0
	s_delay_alu instid0(VALU_DEP_3) | instskip(NEXT) | instid1(VALU_DEP_2)
	v_mad_co_u64_u32 v[38:39], null, s3, v20, v[22:23]
	v_mad_co_u64_u32 v[39:40], null, s1, v23, v[29:30]
	s_delay_alu instid0(VALU_DEP_3) | instskip(NEXT) | instid1(VALU_DEP_3)
	v_mad_co_u64_u32 v[23:24], null, s1, v24, v[31:32]
	v_mov_b32_e32 v22, v38
	v_mad_co_u64_u32 v[24:25], null, s1, v25, v[33:34]
	v_mad_co_u64_u32 v[25:26], null, s1, v26, v[35:36]
	v_mov_b32_e32 v29, v39
	v_mov_b32_e32 v31, v23
	v_mad_co_u64_u32 v[26:27], null, s1, v27, v[37:38]
	v_mov_b32_e32 v33, v24
	v_mov_b32_e32 v35, v25
	v_mul_f64_e32 v[0:1], s[6:7], v[0:1]
	v_mul_f64_e32 v[2:3], s[6:7], v[2:3]
	;; [unrolled: 1-line block ×10, first 2 shown]
	v_mov_b32_e32 v37, v26
	v_cvt_f32_f64_e32 v0, v[0:1]
	v_cvt_f32_f64_e32 v1, v[2:3]
	;; [unrolled: 1-line block ×10, first 2 shown]
	v_lshlrev_b64_e32 v[10:11], 3, v[21:22]
	v_lshlrev_b64_e32 v[12:13], 3, v[28:29]
	v_lshlrev_b64_e32 v[14:15], 3, v[30:31]
	v_lshlrev_b64_e32 v[16:17], 3, v[32:33]
	v_lshlrev_b64_e32 v[18:19], 3, v[34:35]
	v_add_co_u32 v20, vcc_lo, s4, v10
	v_add_co_ci_u32_e32 v21, vcc_lo, s5, v11, vcc_lo
	v_lshlrev_b64_e32 v[10:11], 3, v[36:37]
	s_delay_alu instid0(VALU_DEP_3) | instskip(SKIP_1) | instid1(VALU_DEP_3)
	v_add_co_u32 v12, vcc_lo, v20, v12
	s_wait_alu 0xfffd
	v_add_co_ci_u32_e32 v13, vcc_lo, v21, v13, vcc_lo
	v_add_co_u32 v14, vcc_lo, v20, v14
	s_wait_alu 0xfffd
	v_add_co_ci_u32_e32 v15, vcc_lo, v21, v15, vcc_lo
	;; [unrolled: 3-line block ×5, first 2 shown]
	s_clause 0x4
	global_store_b64 v[12:13], v[0:1], off
	global_store_b64 v[14:15], v[2:3], off
	;; [unrolled: 1-line block ×5, first 2 shown]
.LBB0_23:
	s_nop 0
	s_sendmsg sendmsg(MSG_DEALLOC_VGPRS)
	s_endpgm
	.section	.rodata,"a",@progbits
	.p2align	6, 0x0
	.amdhsa_kernel bluestein_single_fwd_len20_dim1_sp_op_CI_CI
		.amdhsa_group_segment_fixed_size 4000
		.amdhsa_private_segment_fixed_size 0
		.amdhsa_kernarg_size 104
		.amdhsa_user_sgpr_count 2
		.amdhsa_user_sgpr_dispatch_ptr 0
		.amdhsa_user_sgpr_queue_ptr 0
		.amdhsa_user_sgpr_kernarg_segment_ptr 1
		.amdhsa_user_sgpr_dispatch_id 0
		.amdhsa_user_sgpr_private_segment_size 0
		.amdhsa_wavefront_size32 1
		.amdhsa_uses_dynamic_stack 0
		.amdhsa_enable_private_segment 0
		.amdhsa_system_sgpr_workgroup_id_x 1
		.amdhsa_system_sgpr_workgroup_id_y 0
		.amdhsa_system_sgpr_workgroup_id_z 0
		.amdhsa_system_sgpr_workgroup_info 0
		.amdhsa_system_vgpr_workitem_id 0
		.amdhsa_next_free_vgpr 50
		.amdhsa_next_free_sgpr 14
		.amdhsa_reserve_vcc 1
		.amdhsa_float_round_mode_32 0
		.amdhsa_float_round_mode_16_64 0
		.amdhsa_float_denorm_mode_32 3
		.amdhsa_float_denorm_mode_16_64 3
		.amdhsa_fp16_overflow 0
		.amdhsa_workgroup_processor_mode 1
		.amdhsa_memory_ordered 1
		.amdhsa_forward_progress 0
		.amdhsa_round_robin_scheduling 0
		.amdhsa_exception_fp_ieee_invalid_op 0
		.amdhsa_exception_fp_denorm_src 0
		.amdhsa_exception_fp_ieee_div_zero 0
		.amdhsa_exception_fp_ieee_overflow 0
		.amdhsa_exception_fp_ieee_underflow 0
		.amdhsa_exception_fp_ieee_inexact 0
		.amdhsa_exception_int_div_zero 0
	.end_amdhsa_kernel
	.text
.Lfunc_end0:
	.size	bluestein_single_fwd_len20_dim1_sp_op_CI_CI, .Lfunc_end0-bluestein_single_fwd_len20_dim1_sp_op_CI_CI
                                        ; -- End function
	.section	.AMDGPU.csdata,"",@progbits
; Kernel info:
; codeLenInByte = 3672
; NumSgprs: 16
; NumVgprs: 50
; ScratchSize: 0
; MemoryBound: 0
; FloatMode: 240
; IeeeMode: 1
; LDSByteSize: 4000 bytes/workgroup (compile time only)
; SGPRBlocks: 1
; VGPRBlocks: 6
; NumSGPRsForWavesPerEU: 16
; NumVGPRsForWavesPerEU: 50
; Occupancy: 16
; WaveLimiterHint : 1
; COMPUTE_PGM_RSRC2:SCRATCH_EN: 0
; COMPUTE_PGM_RSRC2:USER_SGPR: 2
; COMPUTE_PGM_RSRC2:TRAP_HANDLER: 0
; COMPUTE_PGM_RSRC2:TGID_X_EN: 1
; COMPUTE_PGM_RSRC2:TGID_Y_EN: 0
; COMPUTE_PGM_RSRC2:TGID_Z_EN: 0
; COMPUTE_PGM_RSRC2:TIDIG_COMP_CNT: 0
	.text
	.p2alignl 7, 3214868480
	.fill 96, 4, 3214868480
	.type	__hip_cuid_e02e9dbc04d0b461,@object ; @__hip_cuid_e02e9dbc04d0b461
	.section	.bss,"aw",@nobits
	.globl	__hip_cuid_e02e9dbc04d0b461
__hip_cuid_e02e9dbc04d0b461:
	.byte	0                               ; 0x0
	.size	__hip_cuid_e02e9dbc04d0b461, 1

	.ident	"AMD clang version 19.0.0git (https://github.com/RadeonOpenCompute/llvm-project roc-6.4.0 25133 c7fe45cf4b819c5991fe208aaa96edf142730f1d)"
	.section	".note.GNU-stack","",@progbits
	.addrsig
	.addrsig_sym __hip_cuid_e02e9dbc04d0b461
	.amdgpu_metadata
---
amdhsa.kernels:
  - .args:
      - .actual_access:  read_only
        .address_space:  global
        .offset:         0
        .size:           8
        .value_kind:     global_buffer
      - .actual_access:  read_only
        .address_space:  global
        .offset:         8
        .size:           8
        .value_kind:     global_buffer
      - .actual_access:  read_only
        .address_space:  global
        .offset:         16
        .size:           8
        .value_kind:     global_buffer
      - .actual_access:  read_only
        .address_space:  global
        .offset:         24
        .size:           8
        .value_kind:     global_buffer
      - .actual_access:  read_only
        .address_space:  global
        .offset:         32
        .size:           8
        .value_kind:     global_buffer
      - .offset:         40
        .size:           8
        .value_kind:     by_value
      - .address_space:  global
        .offset:         48
        .size:           8
        .value_kind:     global_buffer
      - .address_space:  global
        .offset:         56
        .size:           8
        .value_kind:     global_buffer
      - .address_space:  global
        .offset:         64
        .size:           8
        .value_kind:     global_buffer
      - .address_space:  global
        .offset:         72
        .size:           8
        .value_kind:     global_buffer
      - .offset:         80
        .size:           4
        .value_kind:     by_value
      - .address_space:  global
        .offset:         88
        .size:           8
        .value_kind:     global_buffer
      - .address_space:  global
        .offset:         96
        .size:           8
        .value_kind:     global_buffer
    .group_segment_fixed_size: 4000
    .kernarg_segment_align: 8
    .kernarg_segment_size: 104
    .language:       OpenCL C
    .language_version:
      - 2
      - 0
    .max_flat_workgroup_size: 250
    .name:           bluestein_single_fwd_len20_dim1_sp_op_CI_CI
    .private_segment_fixed_size: 0
    .sgpr_count:     16
    .sgpr_spill_count: 0
    .symbol:         bluestein_single_fwd_len20_dim1_sp_op_CI_CI.kd
    .uniform_work_group_size: 1
    .uses_dynamic_stack: false
    .vgpr_count:     50
    .vgpr_spill_count: 0
    .wavefront_size: 32
    .workgroup_processor_mode: 1
amdhsa.target:   amdgcn-amd-amdhsa--gfx1201
amdhsa.version:
  - 1
  - 2
...

	.end_amdgpu_metadata
